;; amdgpu-corpus repo=ROCm/rocFFT kind=compiled arch=gfx1100 opt=O3
	.text
	.amdgcn_target "amdgcn-amd-amdhsa--gfx1100"
	.amdhsa_code_object_version 6
	.protected	fft_rtc_back_len99_factors_3_3_11_wgs_220_tpt_11_half_ip_CI_sbrr_dirReg ; -- Begin function fft_rtc_back_len99_factors_3_3_11_wgs_220_tpt_11_half_ip_CI_sbrr_dirReg
	.globl	fft_rtc_back_len99_factors_3_3_11_wgs_220_tpt_11_half_ip_CI_sbrr_dirReg
	.p2align	8
	.type	fft_rtc_back_len99_factors_3_3_11_wgs_220_tpt_11_half_ip_CI_sbrr_dirReg,@function
fft_rtc_back_len99_factors_3_3_11_wgs_220_tpt_11_half_ip_CI_sbrr_dirReg: ; @fft_rtc_back_len99_factors_3_3_11_wgs_220_tpt_11_half_ip_CI_sbrr_dirReg
; %bb.0:
	s_clause 0x1
	s_load_b64 s[12:13], s[0:1], 0x18
	s_load_b128 s[4:7], s[0:1], 0x0
	v_mul_u32_u24_e32 v1, 0x1746, v0
	v_mov_b32_e32 v3, 0
	s_load_b64 s[10:11], s[0:1], 0x50
	s_waitcnt lgkmcnt(0)
	s_load_b64 s[8:9], s[12:13], 0x0
	v_lshrrev_b32_e32 v4, 16, v1
	v_cmp_lt_u64_e64 s2, s[6:7], 2
	s_delay_alu instid0(VALU_DEP_2) | instskip(SKIP_4) | instid1(VALU_DEP_1)
	v_mad_u64_u32 v[1:2], null, s15, 20, v[4:5]
	v_mov_b32_e32 v5, 0
	v_mov_b32_e32 v6, 0
	;; [unrolled: 1-line block ×3, first 2 shown]
	s_and_b32 vcc_lo, exec_lo, s2
	v_dual_mov_b32 v10, v2 :: v_dual_mov_b32 v9, v1
	s_cbranch_vccnz .LBB0_8
; %bb.1:
	s_load_b64 s[2:3], s[0:1], 0x10
	v_dual_mov_b32 v5, 0 :: v_dual_mov_b32 v8, v2
	s_add_u32 s14, s12, 8
	v_dual_mov_b32 v6, 0 :: v_dual_mov_b32 v7, v1
	s_addc_u32 s15, s13, 0
	s_mov_b64 s[18:19], 1
	s_waitcnt lgkmcnt(0)
	s_add_u32 s16, s2, 8
	s_addc_u32 s17, s3, 0
.LBB0_2:                                ; =>This Inner Loop Header: Depth=1
	s_load_b64 s[20:21], s[16:17], 0x0
                                        ; implicit-def: $vgpr9_vgpr10
	s_mov_b32 s2, exec_lo
	s_waitcnt lgkmcnt(0)
	v_or_b32_e32 v4, s21, v8
	s_delay_alu instid0(VALU_DEP_1)
	v_cmpx_ne_u64_e32 0, v[3:4]
	s_xor_b32 s3, exec_lo, s2
	s_cbranch_execz .LBB0_4
; %bb.3:                                ;   in Loop: Header=BB0_2 Depth=1
	v_cvt_f32_u32_e32 v2, s20
	v_cvt_f32_u32_e32 v4, s21
	s_sub_u32 s2, 0, s20
	s_subb_u32 s22, 0, s21
	s_delay_alu instid0(VALU_DEP_1) | instskip(NEXT) | instid1(VALU_DEP_1)
	v_fmac_f32_e32 v2, 0x4f800000, v4
	v_rcp_f32_e32 v2, v2
	s_waitcnt_depctr 0xfff
	v_mul_f32_e32 v2, 0x5f7ffffc, v2
	s_delay_alu instid0(VALU_DEP_1) | instskip(NEXT) | instid1(VALU_DEP_1)
	v_mul_f32_e32 v4, 0x2f800000, v2
	v_trunc_f32_e32 v4, v4
	s_delay_alu instid0(VALU_DEP_1) | instskip(SKIP_1) | instid1(VALU_DEP_2)
	v_fmac_f32_e32 v2, 0xcf800000, v4
	v_cvt_u32_f32_e32 v4, v4
	v_cvt_u32_f32_e32 v2, v2
	s_delay_alu instid0(VALU_DEP_2) | instskip(NEXT) | instid1(VALU_DEP_2)
	v_mul_lo_u32 v9, s2, v4
	v_mul_hi_u32 v10, s2, v2
	v_mul_lo_u32 v11, s22, v2
	s_delay_alu instid0(VALU_DEP_2) | instskip(SKIP_1) | instid1(VALU_DEP_2)
	v_add_nc_u32_e32 v9, v10, v9
	v_mul_lo_u32 v10, s2, v2
	v_add_nc_u32_e32 v9, v9, v11
	s_delay_alu instid0(VALU_DEP_2) | instskip(NEXT) | instid1(VALU_DEP_2)
	v_mul_hi_u32 v11, v2, v10
	v_mul_lo_u32 v12, v2, v9
	v_mul_hi_u32 v13, v2, v9
	v_mul_hi_u32 v14, v4, v10
	v_mul_lo_u32 v10, v4, v10
	v_mul_hi_u32 v15, v4, v9
	v_mul_lo_u32 v9, v4, v9
	v_add_co_u32 v11, vcc_lo, v11, v12
	v_add_co_ci_u32_e32 v12, vcc_lo, 0, v13, vcc_lo
	s_delay_alu instid0(VALU_DEP_2) | instskip(NEXT) | instid1(VALU_DEP_2)
	v_add_co_u32 v10, vcc_lo, v11, v10
	v_add_co_ci_u32_e32 v10, vcc_lo, v12, v14, vcc_lo
	v_add_co_ci_u32_e32 v11, vcc_lo, 0, v15, vcc_lo
	s_delay_alu instid0(VALU_DEP_2) | instskip(NEXT) | instid1(VALU_DEP_2)
	v_add_co_u32 v9, vcc_lo, v10, v9
	v_add_co_ci_u32_e32 v10, vcc_lo, 0, v11, vcc_lo
	s_delay_alu instid0(VALU_DEP_2) | instskip(NEXT) | instid1(VALU_DEP_2)
	v_add_co_u32 v2, vcc_lo, v2, v9
	v_add_co_ci_u32_e32 v4, vcc_lo, v4, v10, vcc_lo
	s_delay_alu instid0(VALU_DEP_2) | instskip(SKIP_1) | instid1(VALU_DEP_3)
	v_mul_hi_u32 v9, s2, v2
	v_mul_lo_u32 v11, s22, v2
	v_mul_lo_u32 v10, s2, v4
	s_delay_alu instid0(VALU_DEP_1) | instskip(SKIP_1) | instid1(VALU_DEP_2)
	v_add_nc_u32_e32 v9, v9, v10
	v_mul_lo_u32 v10, s2, v2
	v_add_nc_u32_e32 v9, v9, v11
	s_delay_alu instid0(VALU_DEP_2) | instskip(NEXT) | instid1(VALU_DEP_2)
	v_mul_hi_u32 v11, v2, v10
	v_mul_lo_u32 v12, v2, v9
	v_mul_hi_u32 v13, v2, v9
	v_mul_hi_u32 v14, v4, v10
	v_mul_lo_u32 v10, v4, v10
	v_mul_hi_u32 v15, v4, v9
	v_mul_lo_u32 v9, v4, v9
	v_add_co_u32 v11, vcc_lo, v11, v12
	v_add_co_ci_u32_e32 v12, vcc_lo, 0, v13, vcc_lo
	s_delay_alu instid0(VALU_DEP_2) | instskip(NEXT) | instid1(VALU_DEP_2)
	v_add_co_u32 v10, vcc_lo, v11, v10
	v_add_co_ci_u32_e32 v10, vcc_lo, v12, v14, vcc_lo
	v_add_co_ci_u32_e32 v11, vcc_lo, 0, v15, vcc_lo
	s_delay_alu instid0(VALU_DEP_2) | instskip(NEXT) | instid1(VALU_DEP_2)
	v_add_co_u32 v9, vcc_lo, v10, v9
	v_add_co_ci_u32_e32 v10, vcc_lo, 0, v11, vcc_lo
	s_delay_alu instid0(VALU_DEP_2) | instskip(NEXT) | instid1(VALU_DEP_2)
	v_add_co_u32 v2, vcc_lo, v2, v9
	v_add_co_ci_u32_e32 v4, vcc_lo, v4, v10, vcc_lo
	s_delay_alu instid0(VALU_DEP_2) | instskip(SKIP_1) | instid1(VALU_DEP_3)
	v_mul_hi_u32 v15, v7, v2
	v_mad_u64_u32 v[11:12], null, v8, v2, 0
	v_mad_u64_u32 v[9:10], null, v7, v4, 0
	v_mad_u64_u32 v[13:14], null, v8, v4, 0
	s_delay_alu instid0(VALU_DEP_2) | instskip(NEXT) | instid1(VALU_DEP_3)
	v_add_co_u32 v2, vcc_lo, v15, v9
	v_add_co_ci_u32_e32 v4, vcc_lo, 0, v10, vcc_lo
	s_delay_alu instid0(VALU_DEP_2) | instskip(NEXT) | instid1(VALU_DEP_2)
	v_add_co_u32 v2, vcc_lo, v2, v11
	v_add_co_ci_u32_e32 v2, vcc_lo, v4, v12, vcc_lo
	v_add_co_ci_u32_e32 v4, vcc_lo, 0, v14, vcc_lo
	s_delay_alu instid0(VALU_DEP_2) | instskip(NEXT) | instid1(VALU_DEP_2)
	v_add_co_u32 v2, vcc_lo, v2, v13
	v_add_co_ci_u32_e32 v4, vcc_lo, 0, v4, vcc_lo
	s_delay_alu instid0(VALU_DEP_2) | instskip(SKIP_1) | instid1(VALU_DEP_3)
	v_mul_lo_u32 v11, s21, v2
	v_mad_u64_u32 v[9:10], null, s20, v2, 0
	v_mul_lo_u32 v12, s20, v4
	s_delay_alu instid0(VALU_DEP_2) | instskip(NEXT) | instid1(VALU_DEP_2)
	v_sub_co_u32 v9, vcc_lo, v7, v9
	v_add3_u32 v10, v10, v12, v11
	s_delay_alu instid0(VALU_DEP_1) | instskip(NEXT) | instid1(VALU_DEP_1)
	v_sub_nc_u32_e32 v11, v8, v10
	v_subrev_co_ci_u32_e64 v11, s2, s21, v11, vcc_lo
	v_add_co_u32 v12, s2, v2, 2
	s_delay_alu instid0(VALU_DEP_1) | instskip(SKIP_3) | instid1(VALU_DEP_3)
	v_add_co_ci_u32_e64 v13, s2, 0, v4, s2
	v_sub_co_u32 v14, s2, v9, s20
	v_sub_co_ci_u32_e32 v10, vcc_lo, v8, v10, vcc_lo
	v_subrev_co_ci_u32_e64 v11, s2, 0, v11, s2
	v_cmp_le_u32_e32 vcc_lo, s20, v14
	s_delay_alu instid0(VALU_DEP_3) | instskip(SKIP_1) | instid1(VALU_DEP_4)
	v_cmp_eq_u32_e64 s2, s21, v10
	v_cndmask_b32_e64 v14, 0, -1, vcc_lo
	v_cmp_le_u32_e32 vcc_lo, s21, v11
	v_cndmask_b32_e64 v15, 0, -1, vcc_lo
	v_cmp_le_u32_e32 vcc_lo, s20, v9
	;; [unrolled: 2-line block ×3, first 2 shown]
	v_cndmask_b32_e64 v16, 0, -1, vcc_lo
	v_cmp_eq_u32_e32 vcc_lo, s21, v11
	s_delay_alu instid0(VALU_DEP_2) | instskip(SKIP_3) | instid1(VALU_DEP_3)
	v_cndmask_b32_e64 v9, v16, v9, s2
	v_cndmask_b32_e32 v11, v15, v14, vcc_lo
	v_add_co_u32 v14, vcc_lo, v2, 1
	v_add_co_ci_u32_e32 v15, vcc_lo, 0, v4, vcc_lo
	v_cmp_ne_u32_e32 vcc_lo, 0, v11
	s_delay_alu instid0(VALU_DEP_2) | instskip(SKIP_1) | instid1(VALU_DEP_2)
	v_dual_cndmask_b32 v10, v15, v13 :: v_dual_cndmask_b32 v11, v14, v12
	v_cmp_ne_u32_e32 vcc_lo, 0, v9
	v_dual_cndmask_b32 v10, v4, v10 :: v_dual_cndmask_b32 v9, v2, v11
.LBB0_4:                                ;   in Loop: Header=BB0_2 Depth=1
	s_and_not1_saveexec_b32 s2, s3
	s_cbranch_execz .LBB0_6
; %bb.5:                                ;   in Loop: Header=BB0_2 Depth=1
	v_cvt_f32_u32_e32 v2, s20
	s_sub_i32 s3, 0, s20
	s_delay_alu instid0(VALU_DEP_1) | instskip(SKIP_2) | instid1(VALU_DEP_1)
	v_rcp_iflag_f32_e32 v2, v2
	s_waitcnt_depctr 0xfff
	v_mul_f32_e32 v2, 0x4f7ffffe, v2
	v_cvt_u32_f32_e32 v2, v2
	s_delay_alu instid0(VALU_DEP_1) | instskip(NEXT) | instid1(VALU_DEP_1)
	v_mul_lo_u32 v4, s3, v2
	v_mul_hi_u32 v4, v2, v4
	s_delay_alu instid0(VALU_DEP_1) | instskip(NEXT) | instid1(VALU_DEP_1)
	v_add_nc_u32_e32 v2, v2, v4
	v_mul_hi_u32 v2, v7, v2
	s_delay_alu instid0(VALU_DEP_1) | instskip(SKIP_1) | instid1(VALU_DEP_2)
	v_mul_lo_u32 v4, v2, s20
	v_add_nc_u32_e32 v9, 1, v2
	v_sub_nc_u32_e32 v4, v7, v4
	s_delay_alu instid0(VALU_DEP_1) | instskip(SKIP_1) | instid1(VALU_DEP_2)
	v_subrev_nc_u32_e32 v10, s20, v4
	v_cmp_le_u32_e32 vcc_lo, s20, v4
	v_cndmask_b32_e32 v4, v4, v10, vcc_lo
	v_mov_b32_e32 v10, v3
	v_cndmask_b32_e32 v2, v2, v9, vcc_lo
	s_delay_alu instid0(VALU_DEP_3) | instskip(NEXT) | instid1(VALU_DEP_2)
	v_cmp_le_u32_e32 vcc_lo, s20, v4
	v_add_nc_u32_e32 v9, 1, v2
	s_delay_alu instid0(VALU_DEP_1)
	v_cndmask_b32_e32 v9, v2, v9, vcc_lo
.LBB0_6:                                ;   in Loop: Header=BB0_2 Depth=1
	s_or_b32 exec_lo, exec_lo, s2
	s_load_b64 s[2:3], s[14:15], 0x0
	v_mul_lo_u32 v2, v10, s20
	s_delay_alu instid0(VALU_DEP_2)
	v_mul_lo_u32 v4, v9, s21
	v_mad_u64_u32 v[11:12], null, v9, s20, 0
	s_add_u32 s18, s18, 1
	s_addc_u32 s19, s19, 0
	s_add_u32 s14, s14, 8
	s_addc_u32 s15, s15, 0
	;; [unrolled: 2-line block ×3, first 2 shown]
	s_delay_alu instid0(VALU_DEP_1) | instskip(SKIP_1) | instid1(VALU_DEP_2)
	v_add3_u32 v2, v12, v4, v2
	v_sub_co_u32 v4, vcc_lo, v7, v11
	v_sub_co_ci_u32_e32 v2, vcc_lo, v8, v2, vcc_lo
	s_waitcnt lgkmcnt(0)
	s_delay_alu instid0(VALU_DEP_2) | instskip(NEXT) | instid1(VALU_DEP_2)
	v_mul_lo_u32 v11, s3, v4
	v_mul_lo_u32 v2, s2, v2
	v_mad_u64_u32 v[7:8], null, s2, v4, v[5:6]
	v_cmp_ge_u64_e64 s2, s[18:19], s[6:7]
	s_delay_alu instid0(VALU_DEP_1) | instskip(NEXT) | instid1(VALU_DEP_2)
	s_and_b32 vcc_lo, exec_lo, s2
	v_add3_u32 v6, v11, v8, v2
	s_delay_alu instid0(VALU_DEP_3)
	v_mov_b32_e32 v5, v7
	s_cbranch_vccnz .LBB0_8
; %bb.7:                                ;   in Loop: Header=BB0_2 Depth=1
	v_dual_mov_b32 v7, v9 :: v_dual_mov_b32 v8, v10
	s_branch .LBB0_2
.LBB0_8:
	s_lshl_b64 s[2:3], s[6:7], 3
	v_mul_hi_u32 v2, 0x1745d175, v0
	s_add_u32 s2, s12, s2
	s_addc_u32 s3, s13, s3
	s_load_b64 s[2:3], s[2:3], 0x0
	s_load_b64 s[0:1], s[0:1], 0x20
	s_delay_alu instid0(VALU_DEP_1) | instskip(NEXT) | instid1(VALU_DEP_1)
	v_mul_u32_u24_e32 v4, 11, v2
	v_sub_nc_u32_e32 v24, v0, v4
	s_delay_alu instid0(VALU_DEP_1)
	v_add_nc_u32_e32 v0, 11, v24
	v_add_nc_u32_e32 v4, 22, v24
	s_waitcnt lgkmcnt(0)
	v_mul_lo_u32 v7, s2, v10
	v_mul_lo_u32 v8, s3, v9
	v_mad_u64_u32 v[2:3], null, s2, v9, v[5:6]
	v_cmp_gt_u64_e32 vcc_lo, s[0:1], v[9:10]
	v_cmp_le_u64_e64 s0, s[0:1], v[9:10]
	s_delay_alu instid0(VALU_DEP_3) | instskip(NEXT) | instid1(VALU_DEP_2)
	v_add3_u32 v3, v8, v3, v7
	s_and_saveexec_b32 s1, s0
	s_delay_alu instid0(SALU_CYCLE_1)
	s_xor_b32 s0, exec_lo, s1
; %bb.9:
	v_add_nc_u32_e32 v0, 11, v24
	v_add_nc_u32_e32 v4, 22, v24
; %bb.10:
	s_or_saveexec_b32 s1, s0
	v_lshlrev_b64 v[8:9], 2, v[2:3]
                                        ; implicit-def: $vgpr2
                                        ; implicit-def: $vgpr11
                                        ; implicit-def: $vgpr5
                                        ; implicit-def: $vgpr3
                                        ; implicit-def: $vgpr12
                                        ; implicit-def: $vgpr7
                                        ; implicit-def: $vgpr6
                                        ; implicit-def: $vgpr13
                                        ; implicit-def: $vgpr10
	s_xor_b32 exec_lo, exec_lo, s1
	s_cbranch_execz .LBB0_12
; %bb.11:
	v_add_nc_u32_e32 v15, 33, v24
	v_mad_u64_u32 v[2:3], null, s8, v24, 0
	s_delay_alu instid0(VALU_DEP_3) | instskip(NEXT) | instid1(VALU_DEP_3)
	v_add_co_u32 v30, s0, s10, v8
	v_mad_u64_u32 v[5:6], null, s8, v15, 0
	v_add_nc_u32_e32 v16, 0x42, v24
	v_add_co_ci_u32_e64 v31, s0, s11, v9, s0
	v_mad_u64_u32 v[12:13], null, s9, v24, v[3:4]
	v_mad_u64_u32 v[13:14], null, s8, v0, 0
	v_mov_b32_e32 v3, v6
	v_mad_u64_u32 v[10:11], null, s8, v16, 0
	v_add_nc_u32_e32 v25, 0x4d, v24
	v_add_nc_u32_e32 v32, 0x58, v24
	s_delay_alu instid0(VALU_DEP_4) | instskip(SKIP_3) | instid1(VALU_DEP_3)
	v_mad_u64_u32 v[6:7], null, s9, v15, v[3:4]
	v_mov_b32_e32 v3, v12
	v_mad_u64_u32 v[20:21], null, s8, v4, 0
	v_mov_b32_e32 v7, v11
	v_lshlrev_b64 v[2:3], 2, v[2:3]
	v_lshlrev_b64 v[5:6], 2, v[5:6]
	s_delay_alu instid0(VALU_DEP_3) | instskip(SKIP_1) | instid1(VALU_DEP_4)
	v_mad_u64_u32 v[11:12], null, s9, v16, v[7:8]
	v_dual_mov_b32 v7, v14 :: v_dual_add_nc_u32 v12, 44, v24
	v_add_co_u32 v2, s0, v30, v2
	s_delay_alu instid0(VALU_DEP_1) | instskip(NEXT) | instid1(VALU_DEP_3)
	v_add_co_ci_u32_e64 v3, s0, v31, v3, s0
	v_mad_u64_u32 v[15:16], null, s8, v12, 0
	s_delay_alu instid0(VALU_DEP_4) | instskip(SKIP_1) | instid1(VALU_DEP_1)
	v_mad_u64_u32 v[17:18], null, s9, v0, v[7:8]
	v_add_co_u32 v18, s0, v30, v5
	v_add_co_ci_u32_e64 v19, s0, v31, v6, s0
	v_lshlrev_b64 v[5:6], 2, v[10:11]
	v_mad_u64_u32 v[10:11], null, s8, v25, 0
	v_dual_mov_b32 v7, v16 :: v_dual_mov_b32 v14, v17
	s_delay_alu instid0(VALU_DEP_3) | instskip(NEXT) | instid1(VALU_DEP_2)
	v_add_co_u32 v22, s0, v30, v5
	v_mad_u64_u32 v[16:17], null, s9, v12, v[7:8]
	v_add_co_ci_u32_e64 v23, s0, v31, v6, s0
	s_delay_alu instid0(VALU_DEP_4) | instskip(SKIP_2) | instid1(VALU_DEP_2)
	v_lshlrev_b64 v[6:7], 2, v[13:14]
	v_mov_b32_e32 v5, v11
	v_add_nc_u32_e32 v17, 55, v24
	v_mad_u64_u32 v[11:12], null, s9, v25, v[5:6]
	s_delay_alu instid0(VALU_DEP_2) | instskip(SKIP_2) | instid1(VALU_DEP_1)
	v_mad_u64_u32 v[12:13], null, s8, v17, 0
	v_mov_b32_e32 v5, v21
	v_add_co_u32 v28, s0, v30, v6
	v_add_co_ci_u32_e64 v29, s0, v31, v7, s0
	s_delay_alu instid0(VALU_DEP_3) | instskip(SKIP_3) | instid1(VALU_DEP_2)
	v_mad_u64_u32 v[25:26], null, s9, v4, v[5:6]
	v_lshlrev_b64 v[6:7], 2, v[15:16]
	v_mov_b32_e32 v5, v13
	v_mad_u64_u32 v[26:27], null, s8, v32, 0
	v_mad_u64_u32 v[13:14], null, s9, v17, v[5:6]
	v_add_co_u32 v14, s0, v30, v6
	s_delay_alu instid0(VALU_DEP_1) | instskip(SKIP_3) | instid1(VALU_DEP_2)
	v_add_co_ci_u32_e64 v15, s0, v31, v7, s0
	v_lshlrev_b64 v[6:7], 2, v[10:11]
	v_mov_b32_e32 v5, v27
	v_mov_b32_e32 v21, v25
	v_mad_u64_u32 v[10:11], null, s9, v32, v[5:6]
	s_delay_alu instid0(VALU_DEP_2)
	v_lshlrev_b64 v[16:17], 2, v[20:21]
	v_add_co_u32 v20, s0, v30, v6
	v_lshlrev_b64 v[5:6], 2, v[12:13]
	v_add_co_ci_u32_e64 v21, s0, v31, v7, s0
	v_mov_b32_e32 v27, v10
	v_add_co_u32 v16, s0, v30, v16
	s_delay_alu instid0(VALU_DEP_1) | instskip(NEXT) | instid1(VALU_DEP_3)
	v_add_co_ci_u32_e64 v17, s0, v31, v17, s0
	v_lshlrev_b64 v[10:11], 2, v[26:27]
	v_add_co_u32 v25, s0, v30, v5
	s_delay_alu instid0(VALU_DEP_1) | instskip(NEXT) | instid1(VALU_DEP_3)
	v_add_co_ci_u32_e64 v26, s0, v31, v6, s0
	v_add_co_u32 v30, s0, v30, v10
	s_delay_alu instid0(VALU_DEP_1)
	v_add_co_ci_u32_e64 v31, s0, v31, v11, s0
	s_clause 0x8
	global_load_b32 v6, v[2:3], off
	global_load_b32 v13, v[18:19], off
	;; [unrolled: 1-line block ×9, first 2 shown]
.LBB0_12:
	s_or_b32 exec_lo, exec_lo, s1
	v_mul_hi_u32 v14, 0xcccccccd, v1
	s_waitcnt vmcnt(7)
	v_pk_add_f16 v15, v6, v13
	s_waitcnt vmcnt(4)
	v_pk_add_f16 v16, v3, v12
	v_pk_add_f16 v18, v13, v10
	v_pk_add_f16 v13, v13, v10 neg_lo:[0,1] neg_hi:[0,1]
	s_waitcnt vmcnt(3)
	v_pk_add_f16 v19, v12, v7
	v_pk_add_f16 v12, v12, v7 neg_lo:[0,1] neg_hi:[0,1]
	v_and_b32_e32 v22, 0xff, v0
	v_lshrrev_b32_e32 v14, 4, v14
	v_and_b32_e32 v21, 0xff, v24
	v_pk_add_f16 v10, v15, v10
	v_pk_fma_f16 v6, v18, 0.5, v6 op_sel_hi:[1,0,1] neg_lo:[1,0,0] neg_hi:[1,0,0]
	v_pk_mul_f16 v13, 0x3aee, v13 op_sel_hi:[0,1]
	v_mul_lo_u32 v14, v14, 20
	v_pk_fma_f16 v3, v19, 0.5, v3 op_sel_hi:[1,0,1] neg_lo:[1,0,0] neg_hi:[1,0,0]
	v_pk_mul_f16 v12, 0x3aee, v12 op_sel_hi:[0,1]
	v_mul_lo_u16 v15, 0xab, v22
	s_waitcnt vmcnt(0)
	v_pk_add_f16 v20, v2, v11
	v_and_b32_e32 v23, 0xff, v4
	v_pk_add_f16 v17, v11, v5
	v_pk_add_f16 v7, v16, v7
	v_sub_nc_u32_e32 v1, v1, v14
	v_mul_lo_u16 v14, 0xab, v21
	v_pk_fma_f16 v5, v20, 0.5, v5 op_sel_hi:[1,0,1] neg_lo:[1,0,0] neg_hi:[1,0,0]
	v_mul_lo_u16 v16, 0xab, v23
	v_pk_add_f16 v11, v11, v2 neg_lo:[0,1] neg_hi:[0,1]
	v_mul_u32_u24_e32 v1, 0x63, v1
	v_lshrrev_b16 v19, 9, v14
	v_pk_add_f16 v2, v2, v17
	v_cmp_gt_u32_e64 s0, 9, v24
	v_pk_mul_f16 v11, 0x3aee, v11 op_sel_hi:[0,1]
	v_lshlrev_b32_e32 v22, 2, v1
	v_pk_add_f16 v1, v6, v13 op_sel:[0,1] op_sel_hi:[1,0] neg_lo:[0,1] neg_hi:[0,1]
	v_pk_add_f16 v6, v6, v13 op_sel:[0,1] op_sel_hi:[1,0]
	v_pk_add_f16 v13, v3, v12 op_sel:[0,1] op_sel_hi:[1,0] neg_lo:[0,1] neg_hi:[0,1]
	v_pk_add_f16 v3, v3, v12 op_sel:[0,1] op_sel_hi:[1,0]
	v_add_nc_u32_e32 v12, 0, v22
	v_pk_add_f16 v18, v5, v11 op_sel:[0,1] op_sel_hi:[1,0] neg_lo:[0,1] neg_hi:[0,1]
	v_bfi_b32 v14, 0xffff, v1, v6
	v_bfi_b32 v1, 0xffff, v6, v1
	;; [unrolled: 1-line block ×3, first 2 shown]
	v_mad_u32_u24 v20, v24, 12, v12
	v_mad_i32_i24 v21, v0, 12, v12
	v_bfi_b32 v3, 0xffff, v3, v13
	v_pk_add_f16 v5, v5, v11 op_sel:[0,1] op_sel_hi:[1,0]
	v_mad_i32_i24 v23, v4, 12, v12
	ds_store_2addr_b32 v20, v10, v14 offset1:1
	ds_store_b32 v20, v1 offset:8
	ds_store_2addr_b32 v21, v7, v6 offset1:1
	ds_store_b32 v21, v3 offset:8
	v_lshrrev_b16 v1, 9, v15
	v_mul_lo_u16 v3, v19, 3
	v_lshrrev_b16 v7, 9, v16
	v_bfi_b32 v11, 0xffff, v18, v5
	v_bfi_b32 v5, 0xffff, v5, v18
	v_mul_lo_u16 v6, v1, 3
	v_sub_nc_u16 v3, v24, v3
	v_mul_lo_u16 v10, v7, 3
	ds_store_2addr_b32 v23, v2, v11 offset1:1
	ds_store_b32 v23, v5 offset:8
	s_waitcnt lgkmcnt(0)
	v_sub_nc_u16 v6, v0, v6
	v_and_b32_e32 v25, 0xff, v3
	v_sub_nc_u16 v3, v4, v10
	s_barrier
	buffer_gl0_inv
	v_and_b32_e32 v10, 0xff, v6
	v_lshlrev_b32_e32 v2, 3, v25
	v_and_b32_e32 v26, 0xff, v3
	v_lshlrev_b32_e32 v0, 3, v0
	v_lshlrev_b32_e32 v4, 3, v4
	;; [unrolled: 1-line block ×3, first 2 shown]
	v_and_b32_e32 v28, 0xffff, v1
	v_lshlrev_b32_e32 v11, 3, v26
	s_clause 0x2
	global_load_b64 v[2:3], v2, s[4:5]
	global_load_b64 v[5:6], v5, s[4:5]
	;; [unrolled: 1-line block ×3, first 2 shown]
	v_lshlrev_b32_e32 v11, 3, v24
	v_lshl_add_u32 v1, v24, 2, v12
	v_sub_nc_u32_e32 v12, v21, v0
	v_sub_nc_u32_e32 v4, v23, v4
	v_and_b32_e32 v27, 0xffff, v19
	v_sub_nc_u32_e32 v0, v20, v11
	ds_load_b32 v15, v1
	ds_load_b32 v12, v12
	;; [unrolled: 1-line block ×3, first 2 shown]
	ds_load_2addr_b32 v[16:17], v0 offset0:77 offset1:88
	ds_load_2addr_b32 v[18:19], v0 offset0:33 offset1:44
	;; [unrolled: 1-line block ×3, first 2 shown]
	v_and_b32_e32 v7, 0xffff, v7
	v_mad_u32_u24 v4, v27, 36, 0
	v_mad_u32_u24 v23, v28, 36, 0
	v_lshlrev_b32_e32 v25, 2, v25
	v_lshlrev_b32_e32 v10, 2, v10
	v_mad_u32_u24 v7, v7, 36, 0
	v_lshlrev_b32_e32 v26, 2, v26
	s_waitcnt vmcnt(0) lgkmcnt(0)
	v_add3_u32 v4, v4, v25, v22
	v_add3_u32 v23, v23, v10, v22
	s_barrier
	v_add3_u32 v7, v7, v26, v22
	buffer_gl0_inv
	v_lshrrev_b32_e32 v29, 16, v15
	v_lshrrev_b32_e32 v28, 16, v12
	v_lshrrev_b32_e32 v27, 16, v11
	v_lshrrev_b32_e32 v30, 16, v16
	v_lshrrev_b32_e32 v22, 16, v18
	v_lshrrev_b32_e32 v25, 16, v21
	v_lshrrev_b32_e32 v26, 16, v19
	v_lshrrev_b32_e32 v10, 16, v17
	v_lshrrev_b32_e32 v31, 16, v20
	v_lshrrev_b32_e32 v32, 16, v2
	v_lshrrev_b32_e32 v33, 16, v3
	v_lshrrev_b32_e32 v34, 16, v5
	v_lshrrev_b32_e32 v35, 16, v6
	v_lshrrev_b32_e32 v36, 16, v13
	v_lshrrev_b32_e32 v37, 16, v14
	v_mul_f16_e32 v38, v32, v22
	v_mul_f16_e32 v32, v32, v18
	;; [unrolled: 1-line block ×12, first 2 shown]
	v_fmac_f16_e32 v38, v2, v18
	v_fma_f16 v2, v2, v22, -v32
	v_fmac_f16_e32 v39, v3, v21
	v_fma_f16 v3, v3, v25, -v33
	;; [unrolled: 2-line block ×6, first 2 shown]
	v_add_f16_e32 v16, v38, v39
	v_sub_f16_e32 v17, v2, v3
	v_add_f16_e32 v18, v29, v2
	v_add_f16_e32 v2, v2, v3
	;; [unrolled: 1-line block ×3, first 2 shown]
	v_sub_f16_e32 v22, v5, v6
	v_add_f16_e32 v30, v28, v5
	v_add_f16_e32 v5, v5, v6
	v_add_f16_e32 v32, v42, v43
	v_add_f16_e32 v36, v13, v10
	v_add_f16_e32 v14, v15, v38
	v_sub_f16_e32 v19, v38, v39
	v_fmac_f16_e32 v15, -0.5, v16
	v_fmac_f16_e32 v29, -0.5, v2
	v_add_f16_e32 v20, v12, v40
	v_sub_f16_e32 v34, v40, v41
	v_add_f16_e32 v31, v11, v42
	v_add_f16_e32 v33, v27, v13
	v_fmac_f16_e32 v12, -0.5, v21
	v_fmac_f16_e32 v28, -0.5, v5
	v_sub_f16_e32 v35, v13, v10
	v_sub_f16_e32 v37, v42, v43
	v_fmac_f16_e32 v11, -0.5, v32
	v_fmac_f16_e32 v27, -0.5, v36
	v_add_f16_e32 v25, v14, v39
	v_add_f16_e32 v26, v18, v3
	v_fmamk_f16 v14, v17, 0xbaee, v15
	v_fmac_f16_e32 v15, 0x3aee, v17
	v_fmamk_f16 v32, v19, 0x3aee, v29
	v_fmac_f16_e32 v29, 0xbaee, v19
	v_add_f16_e32 v16, v20, v41
	v_add_f16_e32 v30, v30, v6
	;; [unrolled: 1-line block ×4, first 2 shown]
	v_fmamk_f16 v17, v22, 0xbaee, v12
	v_fmamk_f16 v33, v34, 0x3aee, v28
	v_fmac_f16_e32 v12, 0x3aee, v22
	v_fmac_f16_e32 v28, 0xbaee, v34
	v_fmamk_f16 v10, v35, 0xbaee, v11
	v_fmamk_f16 v34, v37, 0x3aee, v27
	v_fmac_f16_e32 v11, 0x3aee, v35
	v_fmac_f16_e32 v27, 0xbaee, v37
	v_pack_b32_f16 v2, v25, v26
	v_pack_b32_f16 v6, v14, v32
	;; [unrolled: 1-line block ×9, first 2 shown]
	ds_store_2addr_b32 v4, v2, v6 offset1:3
	ds_store_b32 v4, v18 offset:24
	ds_store_2addr_b32 v23, v3, v19 offset1:3
	ds_store_b32 v23, v20 offset:24
	;; [unrolled: 2-line block ×3, first 2 shown]
	s_waitcnt lgkmcnt(0)
	s_barrier
	buffer_gl0_inv
                                        ; implicit-def: $vgpr36
                                        ; implicit-def: $vgpr19
                                        ; implicit-def: $vgpr35
	s_and_saveexec_b32 s1, s0
	s_cbranch_execnz .LBB0_15
; %bb.13:
	s_or_b32 exec_lo, exec_lo, s1
	s_and_b32 s0, vcc_lo, s0
	s_delay_alu instid0(SALU_CYCLE_1)
	s_and_saveexec_b32 s1, s0
	s_cbranch_execnz .LBB0_16
.LBB0_14:
	s_endpgm
.LBB0_15:
	ds_load_b32 v25, v1
	ds_load_2addr_b32 v[10:11], v0 offset0:63 offset1:72
	ds_load_2addr_b32 v[18:19], v0 offset0:81 offset1:90
	;; [unrolled: 1-line block ×5, first 2 shown]
	s_waitcnt lgkmcnt(5)
	v_lshrrev_b32_e32 v26, 16, v25
	s_waitcnt lgkmcnt(4)
	v_lshrrev_b32_e32 v27, 16, v11
	;; [unrolled: 2-line block ×3, first 2 shown]
	v_lshrrev_b32_e32 v36, 16, v19
	s_waitcnt lgkmcnt(2)
	v_lshrrev_b32_e32 v32, 16, v14
	v_lshrrev_b32_e32 v29, 16, v15
	s_waitcnt lgkmcnt(1)
	v_lshrrev_b32_e32 v30, 16, v16
	;; [unrolled: 3-line block ×3, first 2 shown]
	v_lshrrev_b32_e32 v31, 16, v13
	v_lshrrev_b32_e32 v34, 16, v10
	s_or_b32 exec_lo, exec_lo, s1
	s_and_b32 s0, vcc_lo, s0
	s_delay_alu instid0(SALU_CYCLE_1)
	s_and_saveexec_b32 s1, s0
	s_cbranch_execz .LBB0_14
.LBB0_16:
	v_add_nc_u32_e32 v50, 27, v24
	v_mul_u32_u24_e32 v0, 10, v24
	v_mad_u64_u32 v[22:23], null, s8, v24, 0
	v_add_nc_u32_e32 v52, 45, v24
	s_delay_alu instid0(VALU_DEP_4) | instskip(SKIP_1) | instid1(VALU_DEP_4)
	v_mad_u64_u32 v[41:42], null, s8, v50, 0
	v_add_nc_u32_e32 v49, 18, v24
	v_mad_u64_u32 v[45:46], null, s9, v24, v[23:24]
	s_delay_alu instid0(VALU_DEP_2) | instskip(SKIP_2) | instid1(VALU_DEP_1)
	v_mad_u64_u32 v[39:40], null, s8, v49, 0
	v_lshlrev_b32_e32 v4, 2, v0
	v_add_nc_u32_e32 v48, 9, v24
	v_mad_u64_u32 v[37:38], null, s8, v48, 0
	s_delay_alu instid0(VALU_DEP_4)
	v_mov_b32_e32 v23, v40
	s_clause 0x2
	global_load_b64 v[20:21], v4, s[4:5] offset:56
	global_load_b128 v[0:3], v4, s[4:5] offset:24
	global_load_b128 v[4:7], v4, s[4:5] offset:40
	v_mov_b32_e32 v40, v42
	v_mad_u64_u32 v[46:47], null, s9, v48, v[38:39]
	v_add_nc_u32_e32 v51, 36, v24
	v_mad_u64_u32 v[47:48], null, s9, v49, v[23:24]
	s_delay_alu instid0(VALU_DEP_4) | instskip(NEXT) | instid1(VALU_DEP_4)
	v_mad_u64_u32 v[48:49], null, s9, v50, v[40:41]
	v_dual_mov_b32 v23, v45 :: v_dual_mov_b32 v38, v46
	s_delay_alu instid0(VALU_DEP_4) | instskip(NEXT) | instid1(VALU_DEP_4)
	v_mad_u64_u32 v[43:44], null, s8, v51, 0
	v_mov_b32_e32 v40, v47
	s_delay_alu instid0(VALU_DEP_3)
	v_lshlrev_b64 v[22:23], 2, v[22:23]
	v_mov_b32_e32 v42, v48
	v_add_co_u32 v49, vcc_lo, s10, v8
	v_add_co_ci_u32_e32 v50, vcc_lo, s11, v9, vcc_lo
	v_mad_u64_u32 v[45:46], null, s9, v51, v[44:45]
	v_lshlrev_b64 v[37:38], 2, v[37:38]
	s_delay_alu instid0(VALU_DEP_4) | instskip(NEXT) | instid1(VALU_DEP_4)
	v_add_co_u32 v22, vcc_lo, v49, v22
	v_add_co_ci_u32_e32 v23, vcc_lo, v50, v23, vcc_lo
	v_mad_u64_u32 v[8:9], null, s8, v52, 0
	s_delay_alu instid0(VALU_DEP_4)
	v_add_co_u32 v37, vcc_lo, v49, v37
	v_add_co_ci_u32_e32 v38, vcc_lo, v50, v38, vcc_lo
	s_waitcnt vmcnt(2)
	v_lshrrev_b32_e32 v46, 16, v21
	s_waitcnt vmcnt(1)
	v_lshrrev_b32_e32 v47, 16, v0
	v_lshrrev_b32_e32 v44, 16, v20
	;; [unrolled: 1-line block ×5, first 2 shown]
	s_waitcnt vmcnt(0)
	v_lshrrev_b32_e32 v54, 16, v4
	v_lshrrev_b32_e32 v55, 16, v5
	;; [unrolled: 1-line block ×4, first 2 shown]
	v_mul_f16_e32 v58, v19, v46
	v_mul_f16_e32 v59, v14, v47
	;; [unrolled: 1-line block ×18, first 2 shown]
	v_fma_f16 v36, v36, v21, -v58
	v_fma_f16 v32, v32, v0, -v59
	v_fmac_f16_e32 v47, v14, v0
	v_mul_f16_e32 v44, v35, v44
	v_mul_f16_e32 v55, v31, v55
	v_fmac_f16_e32 v46, v19, v21
	v_fma_f16 v0, v35, v20, -v60
	v_fma_f16 v14, v29, v1, -v61
	v_fmac_f16_e32 v48, v15, v1
	v_fma_f16 v1, v27, v7, -v62
	v_fma_f16 v15, v30, v2, -v63
	v_fmac_f16_e32 v51, v16, v2
	v_fmac_f16_e32 v57, v11, v7
	v_fma_f16 v2, v34, v6, -v64
	v_fma_f16 v7, v33, v3, -v65
	v_fmac_f16_e32 v53, v17, v3
	;; [unrolled: 4-line block ×3, first 2 shown]
	v_add_f16_e32 v4, v36, v32
	v_add_f16_e32 v27, v26, v32
	v_add_f16_e32 v28, v25, v47
	v_fmac_f16_e32 v44, v18, v20
	v_fmac_f16_e32 v55, v13, v5
	v_sub_f16_e32 v5, v47, v46
	v_add_f16_e32 v10, v0, v14
	v_add_f16_e32 v12, v1, v15
	v_add_f16_e32 v16, v2, v7
	v_add_f16_e32 v18, v3, v6
	v_sub_f16_e32 v20, v32, v36
	v_sub_f16_e32 v29, v14, v0
	;; [unrolled: 1-line block ×5, first 2 shown]
	v_mul_f16_e32 v58, 0xbbad, v4
	v_mul_f16_e32 v64, 0xb93d, v4
	;; [unrolled: 1-line block ×5, first 2 shown]
	v_add_f16_e32 v14, v27, v14
	v_add_f16_e32 v27, v28, v48
	v_sub_f16_e32 v11, v48, v44
	v_sub_f16_e32 v13, v51, v57
	;; [unrolled: 1-line block ×4, first 2 shown]
	v_add_f16_e32 v21, v46, v47
	v_add_f16_e32 v30, v44, v48
	;; [unrolled: 1-line block ×5, first 2 shown]
	v_mul_f16_e32 v59, 0x3abb, v10
	v_mul_f16_e32 v60, 0xb93d, v12
	;; [unrolled: 1-line block ×45, first 2 shown]
	v_fmamk_f16 v101, v5, 0x3a0c, v64
	v_fmamk_f16 v116, v5, 0x3853, v4
	v_add_f16_e32 v14, v14, v15
	v_add_f16_e32 v15, v27, v51
	v_fmamk_f16 v96, v5, 0x3482, v58
	v_fmamk_f16 v97, v11, 0xb853, v59
	;; [unrolled: 1-line block ×19, first 2 shown]
	v_fmac_f16_e32 v58, 0xb482, v5
	v_fmac_f16_e32 v64, 0xba0c, v5
	v_fmac_f16_e32 v70, 0xbbeb, v5
	v_fmac_f16_e32 v76, 0xbb47, v5
	v_fmac_f16_e32 v4, 0xb853, v5
	v_fmamk_f16 v5, v11, 0x3b47, v10
	v_fmac_f16_e32 v59, 0x3853, v11
	v_fmac_f16_e32 v65, 0x3beb, v11
	v_fmac_f16_e32 v71, 0x3482, v11
	v_fmac_f16_e32 v77, 0xba0c, v11
	v_fmac_f16_e32 v10, 0xbb47, v11
	v_fmamk_f16 v11, v13, 0x3beb, v12
	;; [unrolled: 6-line block ×5, first 2 shown]
	v_fma_f16 v63, v21, 0xbbad, -v63
	v_fmamk_f16 v117, v21, 0xb93d, v69
	v_fma_f16 v69, v21, 0xb93d, -v69
	v_fmamk_f16 v118, v21, 0xb08e, v75
	;; [unrolled: 2-line block ×16, first 2 shown]
	v_fma_f16 v89, v34, 0xbbad, -v89
	v_fma_f16 v128, 0x3abb, v34, v90
	v_fma_f16 v90, v34, 0x3abb, -v90
	v_fma_f16 v129, 0xb08e, v34, v91
	;; [unrolled: 2-line block ×3, first 2 shown]
	v_fma_f16 v33, v34, 0xb93d, -v33
	v_fmamk_f16 v34, v47, 0xb08e, v92
	v_fma_f16 v92, v47, 0xb08e, -v92
	v_fma_f16 v131, 0x36a6, v47, v93
	v_fma_f16 v93, v47, 0x36a6, -v93
	v_fma_f16 v132, 0xb93d, v47, v94
	;; [unrolled: 2-line block ×4, first 2 shown]
	v_fma_f16 v35, v47, 0xbbad, -v35
	v_add_f16_e32 v15, v15, v53
	v_add_f16_e32 v7, v14, v7
	;; [unrolled: 1-line block ×43, first 2 shown]
	v_add_f16_e64 v11, v11, v130
	v_add_f16_e32 v13, v44, v13
	v_add_f16_e32 v0, v0, v1
	;; [unrolled: 1-line block ×16, first 2 shown]
	v_add_f16_e64 v11, v11, v134
	v_add_f16_e32 v1, v46, v13
	v_add_nc_u32_e32 v13, 63, v24
	v_add_f16_e32 v0, v36, v0
	v_add_f16_e32 v6, v7, v60
	;; [unrolled: 1-line block ×10, first 2 shown]
	v_add_f16_e64 v25, v26, v128
	v_add_f16_e32 v26, v27, v114
	v_add_f16_e64 v27, v29, v129
	v_pack_b32_f16 v0, v1, v0
	v_pack_b32_f16 v1, v11, v5
	v_add_nc_u32_e32 v11, 54, v24
	v_lshlrev_b64 v[39:40], 2, v[39:40]
	v_add_f16_e32 v3, v6, v61
	v_add_f16_e32 v6, v7, v88
	;; [unrolled: 1-line block ×5, first 2 shown]
	v_add_f16_e64 v19, v20, v131
	v_add_f16_e32 v20, v21, v110
	v_add_f16_e64 v21, v25, v132
	v_add_f16_e32 v25, v26, v115
	v_add_f16_e64 v2, v27, v133
	v_mov_b32_e32 v44, v45
	v_lshlrev_b64 v[41:42], 2, v[41:42]
	v_add_f16_e32 v10, v10, v31
	s_clause 0x1
	global_store_b32 v[22:23], v0, off
	global_store_b32 v[37:38], v1, off
	v_add_co_u32 v0, vcc_lo, v49, v39
	v_add_f16_e32 v17, v3, v62
	v_add_f16_e32 v27, v7, v68
	v_pack_b32_f16 v7, v2, v25
	v_lshlrev_b64 v[2:3], 2, v[43:44]
	v_add_co_ci_u32_e32 v1, vcc_lo, v50, v40, vcc_lo
	v_add_f16_e32 v10, v10, v33
	v_add_f16_e32 v18, v4, v18
	v_mov_b32_e32 v4, v9
	v_add_co_u32 v5, vcc_lo, v49, v41
	v_add_f16_e32 v26, v6, v92
	v_add_co_ci_u32_e32 v6, vcc_lo, v50, v42, vcc_lo
	v_add_co_u32 v2, vcc_lo, v49, v2
	v_add_f16_e32 v32, v10, v35
	v_mad_u64_u32 v[9:10], null, s9, v52, v[4:5]
	v_add_co_ci_u32_e32 v3, vcc_lo, v50, v3, vcc_lo
	v_pack_b32_f16 v10, v19, v16
	v_pack_b32_f16 v4, v21, v20
	v_add_nc_u32_e32 v16, 0x48, v24
	s_clause 0x2
	global_store_b32 v[0:1], v7, off
	global_store_b32 v[5:6], v4, off
	;; [unrolled: 1-line block ×3, first 2 shown]
	v_mad_u64_u32 v[2:3], null, s8, v11, 0
	v_mad_u64_u32 v[4:5], null, s8, v13, 0
	;; [unrolled: 1-line block ×3, first 2 shown]
	v_add_f16_e32 v12, v12, v100
	v_add_f16_e32 v14, v14, v34
	v_lshlrev_b64 v[0:1], 2, v[8:9]
	v_add_f16_e32 v48, v69, v48
	v_mad_u64_u32 v[8:9], null, s9, v11, v[3:4]
	s_delay_alu instid0(VALU_DEP_4) | instskip(SKIP_4) | instid1(VALU_DEP_4)
	v_pack_b32_f16 v12, v14, v12
	v_add_nc_u32_e32 v14, 0x51, v24
	v_mad_u64_u32 v[9:10], null, s9, v13, v[5:6]
	v_mov_b32_e32 v5, v7
	v_add_co_u32 v0, vcc_lo, v49, v0
	v_mad_u64_u32 v[10:11], null, s8, v14, 0
	v_mov_b32_e32 v3, v8
	s_delay_alu instid0(VALU_DEP_4) | instskip(SKIP_4) | instid1(VALU_DEP_4)
	v_mad_u64_u32 v[7:8], null, s9, v16, v[5:6]
	v_dual_mov_b32 v5, v9 :: v_dual_add_nc_u32 v16, 0x5a, v24
	v_add_co_ci_u32_e32 v1, vcc_lo, v50, v1, vcc_lo
	v_add_f16_e32 v58, v70, v71
	v_add_f16_e32 v59, v75, v82
	v_mad_u64_u32 v[8:9], null, s8, v16, 0
	global_store_b32 v[0:1], v12, off
	v_lshlrev_b64 v[0:1], 2, v[2:3]
	v_mov_b32_e32 v2, v11
	v_add_f16_e32 v63, v76, v77
	v_add_f16_e32 v64, v81, v83
	;; [unrolled: 1-line block ×4, first 2 shown]
	v_mad_u64_u32 v[11:12], null, s9, v14, v[2:3]
	v_lshlrev_b64 v[3:4], 2, v[4:5]
	v_mov_b32_e32 v2, v9
	v_add_f16_e32 v48, v59, v86
	v_add_f16_e32 v51, v63, v78
	;; [unrolled: 1-line block ×3, first 2 shown]
	v_add_co_u32 v0, vcc_lo, v49, v0
	v_mad_u64_u32 v[12:13], null, s9, v16, v[2:3]
	v_lshlrev_b64 v[5:6], 2, v[6:7]
	v_add_co_ci_u32_e32 v1, vcc_lo, v50, v1, vcc_lo
	v_add_f16_e32 v15, v30, v89
	v_add_co_u32 v2, vcc_lo, v49, v3
	v_mov_b32_e32 v9, v12
	v_add_f16_e32 v28, v47, v73
	v_add_f16_e32 v29, v48, v90
	;; [unrolled: 1-line block ×4, first 2 shown]
	v_add_co_ci_u32_e32 v3, vcc_lo, v50, v4, vcc_lo
	v_lshlrev_b64 v[10:11], 2, v[10:11]
	v_add_co_u32 v4, vcc_lo, v49, v5
	v_add_f16_e32 v15, v15, v93
	v_add_co_ci_u32_e32 v5, vcc_lo, v50, v6, vcc_lo
	v_lshlrev_b64 v[6:7], 2, v[8:9]
	v_add_f16_e32 v28, v28, v74
	v_add_f16_e32 v29, v29, v94
	;; [unrolled: 1-line block ×4, first 2 shown]
	v_add_co_u32 v8, vcc_lo, v49, v10
	v_pack_b32_f16 v14, v26, v17
	v_pack_b32_f16 v13, v15, v27
	v_add_co_ci_u32_e32 v9, vcc_lo, v50, v11, vcc_lo
	v_pack_b32_f16 v12, v29, v28
	v_add_co_u32 v6, vcc_lo, v49, v6
	v_pack_b32_f16 v10, v31, v30
	v_add_co_ci_u32_e32 v7, vcc_lo, v50, v7, vcc_lo
	v_pack_b32_f16 v11, v32, v18
	s_clause 0x4
	global_store_b32 v[0:1], v14, off
	global_store_b32 v[2:3], v13, off
	;; [unrolled: 1-line block ×5, first 2 shown]
	s_nop 0
	s_sendmsg sendmsg(MSG_DEALLOC_VGPRS)
	s_endpgm
	.section	.rodata,"a",@progbits
	.p2align	6, 0x0
	.amdhsa_kernel fft_rtc_back_len99_factors_3_3_11_wgs_220_tpt_11_half_ip_CI_sbrr_dirReg
		.amdhsa_group_segment_fixed_size 0
		.amdhsa_private_segment_fixed_size 0
		.amdhsa_kernarg_size 88
		.amdhsa_user_sgpr_count 15
		.amdhsa_user_sgpr_dispatch_ptr 0
		.amdhsa_user_sgpr_queue_ptr 0
		.amdhsa_user_sgpr_kernarg_segment_ptr 1
		.amdhsa_user_sgpr_dispatch_id 0
		.amdhsa_user_sgpr_private_segment_size 0
		.amdhsa_wavefront_size32 1
		.amdhsa_uses_dynamic_stack 0
		.amdhsa_enable_private_segment 0
		.amdhsa_system_sgpr_workgroup_id_x 1
		.amdhsa_system_sgpr_workgroup_id_y 0
		.amdhsa_system_sgpr_workgroup_id_z 0
		.amdhsa_system_sgpr_workgroup_info 0
		.amdhsa_system_vgpr_workitem_id 0
		.amdhsa_next_free_vgpr 135
		.amdhsa_next_free_sgpr 23
		.amdhsa_reserve_vcc 1
		.amdhsa_float_round_mode_32 0
		.amdhsa_float_round_mode_16_64 0
		.amdhsa_float_denorm_mode_32 3
		.amdhsa_float_denorm_mode_16_64 3
		.amdhsa_dx10_clamp 1
		.amdhsa_ieee_mode 1
		.amdhsa_fp16_overflow 0
		.amdhsa_workgroup_processor_mode 1
		.amdhsa_memory_ordered 1
		.amdhsa_forward_progress 0
		.amdhsa_shared_vgpr_count 0
		.amdhsa_exception_fp_ieee_invalid_op 0
		.amdhsa_exception_fp_denorm_src 0
		.amdhsa_exception_fp_ieee_div_zero 0
		.amdhsa_exception_fp_ieee_overflow 0
		.amdhsa_exception_fp_ieee_underflow 0
		.amdhsa_exception_fp_ieee_inexact 0
		.amdhsa_exception_int_div_zero 0
	.end_amdhsa_kernel
	.text
.Lfunc_end0:
	.size	fft_rtc_back_len99_factors_3_3_11_wgs_220_tpt_11_half_ip_CI_sbrr_dirReg, .Lfunc_end0-fft_rtc_back_len99_factors_3_3_11_wgs_220_tpt_11_half_ip_CI_sbrr_dirReg
                                        ; -- End function
	.section	.AMDGPU.csdata,"",@progbits
; Kernel info:
; codeLenInByte = 6452
; NumSgprs: 25
; NumVgprs: 135
; ScratchSize: 0
; MemoryBound: 0
; FloatMode: 240
; IeeeMode: 1
; LDSByteSize: 0 bytes/workgroup (compile time only)
; SGPRBlocks: 3
; VGPRBlocks: 16
; NumSGPRsForWavesPerEU: 25
; NumVGPRsForWavesPerEU: 135
; Occupancy: 10
; WaveLimiterHint : 1
; COMPUTE_PGM_RSRC2:SCRATCH_EN: 0
; COMPUTE_PGM_RSRC2:USER_SGPR: 15
; COMPUTE_PGM_RSRC2:TRAP_HANDLER: 0
; COMPUTE_PGM_RSRC2:TGID_X_EN: 1
; COMPUTE_PGM_RSRC2:TGID_Y_EN: 0
; COMPUTE_PGM_RSRC2:TGID_Z_EN: 0
; COMPUTE_PGM_RSRC2:TIDIG_COMP_CNT: 0
	.text
	.p2alignl 7, 3214868480
	.fill 96, 4, 3214868480
	.type	__hip_cuid_d9678ec98662070f,@object ; @__hip_cuid_d9678ec98662070f
	.section	.bss,"aw",@nobits
	.globl	__hip_cuid_d9678ec98662070f
__hip_cuid_d9678ec98662070f:
	.byte	0                               ; 0x0
	.size	__hip_cuid_d9678ec98662070f, 1

	.ident	"AMD clang version 19.0.0git (https://github.com/RadeonOpenCompute/llvm-project roc-6.4.0 25133 c7fe45cf4b819c5991fe208aaa96edf142730f1d)"
	.section	".note.GNU-stack","",@progbits
	.addrsig
	.addrsig_sym __hip_cuid_d9678ec98662070f
	.amdgpu_metadata
---
amdhsa.kernels:
  - .args:
      - .actual_access:  read_only
        .address_space:  global
        .offset:         0
        .size:           8
        .value_kind:     global_buffer
      - .offset:         8
        .size:           8
        .value_kind:     by_value
      - .actual_access:  read_only
        .address_space:  global
        .offset:         16
        .size:           8
        .value_kind:     global_buffer
      - .actual_access:  read_only
        .address_space:  global
        .offset:         24
        .size:           8
        .value_kind:     global_buffer
      - .offset:         32
        .size:           8
        .value_kind:     by_value
      - .actual_access:  read_only
        .address_space:  global
        .offset:         40
        .size:           8
        .value_kind:     global_buffer
      - .actual_access:  read_only
        .address_space:  global
        .offset:         48
        .size:           8
        .value_kind:     global_buffer
      - .offset:         56
        .size:           4
        .value_kind:     by_value
      - .actual_access:  read_only
        .address_space:  global
        .offset:         64
        .size:           8
        .value_kind:     global_buffer
      - .actual_access:  read_only
        .address_space:  global
        .offset:         72
        .size:           8
        .value_kind:     global_buffer
      - .address_space:  global
        .offset:         80
        .size:           8
        .value_kind:     global_buffer
    .group_segment_fixed_size: 0
    .kernarg_segment_align: 8
    .kernarg_segment_size: 88
    .language:       OpenCL C
    .language_version:
      - 2
      - 0
    .max_flat_workgroup_size: 220
    .name:           fft_rtc_back_len99_factors_3_3_11_wgs_220_tpt_11_half_ip_CI_sbrr_dirReg
    .private_segment_fixed_size: 0
    .sgpr_count:     25
    .sgpr_spill_count: 0
    .symbol:         fft_rtc_back_len99_factors_3_3_11_wgs_220_tpt_11_half_ip_CI_sbrr_dirReg.kd
    .uniform_work_group_size: 1
    .uses_dynamic_stack: false
    .vgpr_count:     135
    .vgpr_spill_count: 0
    .wavefront_size: 32
    .workgroup_processor_mode: 1
amdhsa.target:   amdgcn-amd-amdhsa--gfx1100
amdhsa.version:
  - 1
  - 2
...

	.end_amdgpu_metadata
